;; amdgpu-corpus repo=ROCm/rocm-libraries kind=compiled arch=gfx906 opt=O3
	.amdgcn_target "amdgcn-amd-amdhsa--gfx906"
	.amdhsa_code_object_version 6
	.text
	.protected	MIOpenBatchNormFwdInferSpatialEst ; -- Begin function MIOpenBatchNormFwdInferSpatialEst
	.globl	MIOpenBatchNormFwdInferSpatialEst
	.p2align	8
	.type	MIOpenBatchNormFwdInferSpatialEst,@function
MIOpenBatchNormFwdInferSpatialEst:      ; @MIOpenBatchNormFwdInferSpatialEst
; %bb.0:
	s_load_dwordx4 s[20:23], s[4:5], 0x38
	s_waitcnt lgkmcnt(0)
	s_cmp_ge_u32 s6, s20
	s_cselect_b64 s[2:3], -1, 0
	s_cmp_ge_u32 s7, s21
	s_cselect_b64 s[10:11], -1, 0
	s_or_b64 s[2:3], s[2:3], s[10:11]
	s_cmp_ge_u32 s8, s22
	s_cselect_b64 s[10:11], -1, 0
	s_or_b64 s[2:3], s[2:3], s[10:11]
	s_and_b64 vcc, exec, s[2:3]
	s_cbranch_vccnz .LBB0_3
; %bb.1:
	s_load_dwordx8 s[12:19], s[4:5], 0x0
	s_load_dwordx2 s[2:3], s[4:5], 0x30
	s_mov_b32 s0, s7
	s_mov_b32 s7, 0
	s_lshl_b64 s[10:11], s[6:7], 2
	s_waitcnt lgkmcnt(0)
	s_add_u32 s20, s16, s10
	s_addc_u32 s21, s17, s11
	s_add_u32 s16, s18, s10
	s_addc_u32 s17, s19, s11
	s_load_dword s1, s[16:17], 0x0
	v_cvt_f32_f64_e32 v0, s[2:3]
	s_mov_b32 s24, 0
	s_mov_b32 s25, 0x3fd80000
	s_load_dwordx4 s[16:19], s[4:5], 0x20
	s_load_dwordx2 s[2:3], s[4:5], 0x48
	s_waitcnt lgkmcnt(0)
	v_add_f32_e32 v0, s1, v0
	v_cvt_f64_f32_e64 v[0:1], |v0|
	v_mov_b32_e32 v6, 0x180
	s_load_dword s1, s[4:5], 0x60
	s_add_u32 s4, s16, s10
	v_rsq_f64_e32 v[2:3], v[0:1]
	s_addc_u32 s5, s17, s11
	s_mul_i32 s2, s2, s0
	s_load_dword s0, s[4:5], 0x0
	s_add_u32 s4, s18, s10
	s_addc_u32 s5, s19, s11
	s_load_dword s20, s[20:21], 0x0
	s_mul_i32 s9, s8, s3
	s_load_dword s4, s[4:5], 0x0
	s_mul_i32 s6, s23, s6
	s_add_i32 s2, s9, s2
	s_add_i32 s6, s2, s6
	s_waitcnt lgkmcnt(0)
	s_mul_i32 s2, s1, s3
	v_mul_f64 v[0:1], v[2:3], -v[0:1]
	v_cmp_class_f64_e32 vcc, v[2:3], v6
	v_fma_f64 v[0:1], v[0:1], v[2:3], 1.0
	v_mul_f64 v[4:5], v[2:3], v[0:1]
	v_fma_f64 v[0:1], v[0:1], s[24:25], 0.5
	v_fma_f64 v[0:1], v[4:5], v[0:1], v[2:3]
	v_cndmask_b32_e32 v1, v3, v1, vcc
	v_cndmask_b32_e32 v0, v2, v0, vcc
	v_cvt_f32_f64_e32 v0, v[0:1]
	v_mov_b32_e32 v1, s20
	v_mov_b32_e32 v2, s4
	;; [unrolled: 1-line block ×3, first 2 shown]
.LBB0_2:                                ; =>This Inner Loop Header: Depth=1
	s_lshl_b64 s[4:5], s[6:7], 2
	s_add_u32 s10, s12, s4
	s_addc_u32 s11, s13, s5
	s_load_dword s3, s[10:11], 0x0
	s_add_u32 s4, s14, s4
	s_addc_u32 s5, s15, s5
	s_add_i32 s8, s8, s1
	s_add_i32 s6, s6, s2
	s_waitcnt lgkmcnt(0)
	v_sub_f32_e32 v4, s3, v1
	v_mul_f32_e32 v4, v4, v0
	s_cmp_lt_u32 s8, s22
	v_fma_f32 v4, s0, v4, v2
	global_store_dword v3, v4, s[4:5]
	s_cbranch_scc1 .LBB0_2
.LBB0_3:
	s_endpgm
	.section	.rodata,"a",@progbits
	.p2align	6, 0x0
	.amdhsa_kernel MIOpenBatchNormFwdInferSpatialEst
		.amdhsa_group_segment_fixed_size 0
		.amdhsa_private_segment_fixed_size 0
		.amdhsa_kernarg_size 344
		.amdhsa_user_sgpr_count 6
		.amdhsa_user_sgpr_private_segment_buffer 1
		.amdhsa_user_sgpr_dispatch_ptr 0
		.amdhsa_user_sgpr_queue_ptr 0
		.amdhsa_user_sgpr_kernarg_segment_ptr 1
		.amdhsa_user_sgpr_dispatch_id 0
		.amdhsa_user_sgpr_flat_scratch_init 0
		.amdhsa_user_sgpr_private_segment_size 0
		.amdhsa_uses_dynamic_stack 0
		.amdhsa_system_sgpr_private_segment_wavefront_offset 0
		.amdhsa_system_sgpr_workgroup_id_x 1
		.amdhsa_system_sgpr_workgroup_id_y 1
		.amdhsa_system_sgpr_workgroup_id_z 1
		.amdhsa_system_sgpr_workgroup_info 0
		.amdhsa_system_vgpr_workitem_id 0
		.amdhsa_next_free_vgpr 7
		.amdhsa_next_free_sgpr 26
		.amdhsa_reserve_vcc 1
		.amdhsa_reserve_flat_scratch 0
		.amdhsa_float_round_mode_32 0
		.amdhsa_float_round_mode_16_64 0
		.amdhsa_float_denorm_mode_32 3
		.amdhsa_float_denorm_mode_16_64 3
		.amdhsa_dx10_clamp 1
		.amdhsa_ieee_mode 1
		.amdhsa_fp16_overflow 0
		.amdhsa_exception_fp_ieee_invalid_op 0
		.amdhsa_exception_fp_denorm_src 0
		.amdhsa_exception_fp_ieee_div_zero 0
		.amdhsa_exception_fp_ieee_overflow 0
		.amdhsa_exception_fp_ieee_underflow 0
		.amdhsa_exception_fp_ieee_inexact 0
		.amdhsa_exception_int_div_zero 0
	.end_amdhsa_kernel
	.text
.Lfunc_end0:
	.size	MIOpenBatchNormFwdInferSpatialEst, .Lfunc_end0-MIOpenBatchNormFwdInferSpatialEst
                                        ; -- End function
	.set MIOpenBatchNormFwdInferSpatialEst.num_vgpr, 7
	.set MIOpenBatchNormFwdInferSpatialEst.num_agpr, 0
	.set MIOpenBatchNormFwdInferSpatialEst.numbered_sgpr, 26
	.set MIOpenBatchNormFwdInferSpatialEst.num_named_barrier, 0
	.set MIOpenBatchNormFwdInferSpatialEst.private_seg_size, 0
	.set MIOpenBatchNormFwdInferSpatialEst.uses_vcc, 1
	.set MIOpenBatchNormFwdInferSpatialEst.uses_flat_scratch, 0
	.set MIOpenBatchNormFwdInferSpatialEst.has_dyn_sized_stack, 0
	.set MIOpenBatchNormFwdInferSpatialEst.has_recursion, 0
	.set MIOpenBatchNormFwdInferSpatialEst.has_indirect_call, 0
	.section	.AMDGPU.csdata,"",@progbits
; Kernel info:
; codeLenInByte = 388
; TotalNumSgprs: 30
; NumVgprs: 7
; ScratchSize: 0
; MemoryBound: 0
; FloatMode: 240
; IeeeMode: 1
; LDSByteSize: 0 bytes/workgroup (compile time only)
; SGPRBlocks: 3
; VGPRBlocks: 1
; NumSGPRsForWavesPerEU: 30
; NumVGPRsForWavesPerEU: 7
; Occupancy: 10
; WaveLimiterHint : 0
; COMPUTE_PGM_RSRC2:SCRATCH_EN: 0
; COMPUTE_PGM_RSRC2:USER_SGPR: 6
; COMPUTE_PGM_RSRC2:TRAP_HANDLER: 0
; COMPUTE_PGM_RSRC2:TGID_X_EN: 1
; COMPUTE_PGM_RSRC2:TGID_Y_EN: 1
; COMPUTE_PGM_RSRC2:TGID_Z_EN: 1
; COMPUTE_PGM_RSRC2:TIDIG_COMP_CNT: 0
	.text
	.protected	MIOpenBatchNormFwdInferSpatialEstInvVar ; -- Begin function MIOpenBatchNormFwdInferSpatialEstInvVar
	.globl	MIOpenBatchNormFwdInferSpatialEstInvVar
	.p2align	8
	.type	MIOpenBatchNormFwdInferSpatialEstInvVar,@function
MIOpenBatchNormFwdInferSpatialEstInvVar: ; @MIOpenBatchNormFwdInferSpatialEstInvVar
; %bb.0:
	s_load_dwordx4 s[20:23], s[4:5], 0x30
	s_waitcnt lgkmcnt(0)
	s_cmp_ge_u32 s6, s20
	s_cselect_b64 s[2:3], -1, 0
	s_cmp_ge_u32 s7, s21
	s_cselect_b64 s[10:11], -1, 0
	s_or_b64 s[2:3], s[2:3], s[10:11]
	s_cmp_ge_u32 s8, s22
	s_cselect_b64 s[10:11], -1, 0
	s_or_b64 s[2:3], s[2:3], s[10:11]
	s_and_b64 vcc, exec, s[2:3]
	s_cbranch_vccnz .LBB1_3
; %bb.1:
	s_load_dwordx8 s[12:19], s[4:5], 0x0
	s_load_dwordx4 s[24:27], s[4:5], 0x20
	s_load_dwordx2 s[10:11], s[4:5], 0x40
	s_mov_b32 s0, s7
	s_mov_b32 s7, 0
	s_lshl_b64 s[20:21], s[6:7], 2
	s_waitcnt lgkmcnt(0)
	s_add_u32 s2, s16, s20
	s_addc_u32 s3, s17, s21
	s_load_dword s9, s[2:3], 0x0
	s_add_u32 s2, s18, s20
	s_addc_u32 s3, s19, s21
	s_load_dword s1, s[2:3], 0x0
	s_add_u32 s2, s24, s20
	s_addc_u32 s3, s25, s21
	s_add_u32 s16, s26, s20
	s_addc_u32 s17, s27, s21
	s_load_dword s2, s[2:3], 0x0
	s_mul_i32 s0, s10, s0
	s_load_dword s16, s[16:17], 0x0
	s_mul_i32 s6, s23, s6
	;; [unrolled: 2-line block ×3, first 2 shown]
	s_add_i32 s0, s4, s0
	s_add_i32 s6, s0, s6
	s_waitcnt lgkmcnt(0)
	v_mov_b32_e32 v0, s9
	s_mul_i32 s0, s3, s11
	v_mov_b32_e32 v1, s16
	v_mov_b32_e32 v2, 0
.LBB1_2:                                ; =>This Inner Loop Header: Depth=1
	s_lshl_b64 s[4:5], s[6:7], 2
	s_add_u32 s10, s12, s4
	s_addc_u32 s11, s13, s5
	s_load_dword s9, s[10:11], 0x0
	s_add_u32 s4, s14, s4
	s_addc_u32 s5, s15, s5
	s_add_i32 s8, s8, s3
	s_add_i32 s6, s6, s0
	s_waitcnt lgkmcnt(0)
	v_sub_f32_e32 v3, s9, v0
	v_mul_f32_e32 v3, s1, v3
	s_cmp_lt_u32 s8, s22
	v_fma_f32 v3, s2, v3, v1
	global_store_dword v2, v3, s[4:5]
	s_cbranch_scc1 .LBB1_2
.LBB1_3:
	s_endpgm
	.section	.rodata,"a",@progbits
	.p2align	6, 0x0
	.amdhsa_kernel MIOpenBatchNormFwdInferSpatialEstInvVar
		.amdhsa_group_segment_fixed_size 0
		.amdhsa_private_segment_fixed_size 0
		.amdhsa_kernarg_size 336
		.amdhsa_user_sgpr_count 6
		.amdhsa_user_sgpr_private_segment_buffer 1
		.amdhsa_user_sgpr_dispatch_ptr 0
		.amdhsa_user_sgpr_queue_ptr 0
		.amdhsa_user_sgpr_kernarg_segment_ptr 1
		.amdhsa_user_sgpr_dispatch_id 0
		.amdhsa_user_sgpr_flat_scratch_init 0
		.amdhsa_user_sgpr_private_segment_size 0
		.amdhsa_uses_dynamic_stack 0
		.amdhsa_system_sgpr_private_segment_wavefront_offset 0
		.amdhsa_system_sgpr_workgroup_id_x 1
		.amdhsa_system_sgpr_workgroup_id_y 1
		.amdhsa_system_sgpr_workgroup_id_z 1
		.amdhsa_system_sgpr_workgroup_info 0
		.amdhsa_system_vgpr_workitem_id 0
		.amdhsa_next_free_vgpr 4
		.amdhsa_next_free_sgpr 28
		.amdhsa_reserve_vcc 1
		.amdhsa_reserve_flat_scratch 0
		.amdhsa_float_round_mode_32 0
		.amdhsa_float_round_mode_16_64 0
		.amdhsa_float_denorm_mode_32 3
		.amdhsa_float_denorm_mode_16_64 3
		.amdhsa_dx10_clamp 1
		.amdhsa_ieee_mode 1
		.amdhsa_fp16_overflow 0
		.amdhsa_exception_fp_ieee_invalid_op 0
		.amdhsa_exception_fp_denorm_src 0
		.amdhsa_exception_fp_ieee_div_zero 0
		.amdhsa_exception_fp_ieee_overflow 0
		.amdhsa_exception_fp_ieee_underflow 0
		.amdhsa_exception_fp_ieee_inexact 0
		.amdhsa_exception_int_div_zero 0
	.end_amdhsa_kernel
	.text
.Lfunc_end1:
	.size	MIOpenBatchNormFwdInferSpatialEstInvVar, .Lfunc_end1-MIOpenBatchNormFwdInferSpatialEstInvVar
                                        ; -- End function
	.set MIOpenBatchNormFwdInferSpatialEstInvVar.num_vgpr, 4
	.set MIOpenBatchNormFwdInferSpatialEstInvVar.num_agpr, 0
	.set MIOpenBatchNormFwdInferSpatialEstInvVar.numbered_sgpr, 28
	.set MIOpenBatchNormFwdInferSpatialEstInvVar.num_named_barrier, 0
	.set MIOpenBatchNormFwdInferSpatialEstInvVar.private_seg_size, 0
	.set MIOpenBatchNormFwdInferSpatialEstInvVar.uses_vcc, 1
	.set MIOpenBatchNormFwdInferSpatialEstInvVar.uses_flat_scratch, 0
	.set MIOpenBatchNormFwdInferSpatialEstInvVar.has_dyn_sized_stack, 0
	.set MIOpenBatchNormFwdInferSpatialEstInvVar.has_recursion, 0
	.set MIOpenBatchNormFwdInferSpatialEstInvVar.has_indirect_call, 0
	.section	.AMDGPU.csdata,"",@progbits
; Kernel info:
; codeLenInByte = 280
; TotalNumSgprs: 32
; NumVgprs: 4
; ScratchSize: 0
; MemoryBound: 0
; FloatMode: 240
; IeeeMode: 1
; LDSByteSize: 0 bytes/workgroup (compile time only)
; SGPRBlocks: 3
; VGPRBlocks: 0
; NumSGPRsForWavesPerEU: 32
; NumVGPRsForWavesPerEU: 4
; Occupancy: 10
; WaveLimiterHint : 0
; COMPUTE_PGM_RSRC2:SCRATCH_EN: 0
; COMPUTE_PGM_RSRC2:USER_SGPR: 6
; COMPUTE_PGM_RSRC2:TRAP_HANDLER: 0
; COMPUTE_PGM_RSRC2:TGID_X_EN: 1
; COMPUTE_PGM_RSRC2:TGID_Y_EN: 1
; COMPUTE_PGM_RSRC2:TGID_Z_EN: 1
; COMPUTE_PGM_RSRC2:TIDIG_COMP_CNT: 0
	.section	.AMDGPU.gpr_maximums,"",@progbits
	.set amdgpu.max_num_vgpr, 0
	.set amdgpu.max_num_agpr, 0
	.set amdgpu.max_num_sgpr, 0
	.section	.AMDGPU.csdata,"",@progbits
	.type	__hip_cuid_e26aac0e810f64bb,@object ; @__hip_cuid_e26aac0e810f64bb
	.section	.bss,"aw",@nobits
	.globl	__hip_cuid_e26aac0e810f64bb
__hip_cuid_e26aac0e810f64bb:
	.byte	0                               ; 0x0
	.size	__hip_cuid_e26aac0e810f64bb, 1

	.ident	"AMD clang version 22.0.0git (https://github.com/RadeonOpenCompute/llvm-project roc-7.2.4 26084 f58b06dce1f9c15707c5f808fd002e18c2accf7e)"
	.section	".note.GNU-stack","",@progbits
	.addrsig
	.addrsig_sym __hip_cuid_e26aac0e810f64bb
	.amdgpu_metadata
---
amdhsa.kernels:
  - .args:
      - .actual_access:  read_only
        .address_space:  global
        .offset:         0
        .size:           8
        .value_kind:     global_buffer
      - .actual_access:  write_only
        .address_space:  global
        .offset:         8
        .size:           8
        .value_kind:     global_buffer
      - .actual_access:  read_only
        .address_space:  global
        .offset:         16
        .size:           8
        .value_kind:     global_buffer
      - .actual_access:  read_only
        .address_space:  global
        .offset:         24
        .size:           8
        .value_kind:     global_buffer
      - .actual_access:  read_only
        .address_space:  global
        .offset:         32
        .size:           8
        .value_kind:     global_buffer
      - .actual_access:  read_only
        .address_space:  global
        .offset:         40
        .size:           8
        .value_kind:     global_buffer
      - .offset:         48
        .size:           8
        .value_kind:     by_value
      - .offset:         56
        .size:           4
        .value_kind:     by_value
      - .offset:         60
        .size:           4
        .value_kind:     by_value
      - .offset:         64
        .size:           4
        .value_kind:     by_value
      - .offset:         68
        .size:           4
        .value_kind:     by_value
      - .offset:         72
        .size:           4
        .value_kind:     by_value
      - .offset:         76
        .size:           4
        .value_kind:     by_value
      - .offset:         80
        .size:           4
        .value_kind:     by_value
      - .offset:         84
        .size:           4
        .value_kind:     by_value
      - .offset:         88
        .size:           4
        .value_kind:     hidden_block_count_x
      - .offset:         92
        .size:           4
        .value_kind:     hidden_block_count_y
      - .offset:         96
        .size:           4
        .value_kind:     hidden_block_count_z
      - .offset:         100
        .size:           2
        .value_kind:     hidden_group_size_x
      - .offset:         102
        .size:           2
        .value_kind:     hidden_group_size_y
      - .offset:         104
        .size:           2
        .value_kind:     hidden_group_size_z
      - .offset:         106
        .size:           2
        .value_kind:     hidden_remainder_x
      - .offset:         108
        .size:           2
        .value_kind:     hidden_remainder_y
      - .offset:         110
        .size:           2
        .value_kind:     hidden_remainder_z
      - .offset:         128
        .size:           8
        .value_kind:     hidden_global_offset_x
      - .offset:         136
        .size:           8
        .value_kind:     hidden_global_offset_y
      - .offset:         144
        .size:           8
        .value_kind:     hidden_global_offset_z
      - .offset:         152
        .size:           2
        .value_kind:     hidden_grid_dims
    .group_segment_fixed_size: 0
    .kernarg_segment_align: 8
    .kernarg_segment_size: 344
    .language:       OpenCL C
    .language_version:
      - 2
      - 0
    .max_flat_workgroup_size: 1
    .name:           MIOpenBatchNormFwdInferSpatialEst
    .private_segment_fixed_size: 0
    .sgpr_count:     30
    .sgpr_spill_count: 0
    .symbol:         MIOpenBatchNormFwdInferSpatialEst.kd
    .uniform_work_group_size: 1
    .uses_dynamic_stack: false
    .vgpr_count:     7
    .vgpr_spill_count: 0
    .wavefront_size: 64
  - .args:
      - .actual_access:  read_only
        .address_space:  global
        .offset:         0
        .size:           8
        .value_kind:     global_buffer
      - .actual_access:  write_only
        .address_space:  global
        .offset:         8
        .size:           8
        .value_kind:     global_buffer
      - .actual_access:  read_only
        .address_space:  global
        .offset:         16
        .size:           8
        .value_kind:     global_buffer
      - .actual_access:  read_only
        .address_space:  global
        .offset:         24
        .size:           8
        .value_kind:     global_buffer
      - .actual_access:  read_only
        .address_space:  global
        .offset:         32
        .size:           8
        .value_kind:     global_buffer
      - .actual_access:  read_only
        .address_space:  global
        .offset:         40
        .size:           8
        .value_kind:     global_buffer
      - .offset:         48
        .size:           4
        .value_kind:     by_value
      - .offset:         52
        .size:           4
        .value_kind:     by_value
      - .offset:         56
        .size:           4
        .value_kind:     by_value
      - .offset:         60
        .size:           4
        .value_kind:     by_value
      - .offset:         64
        .size:           4
        .value_kind:     by_value
      - .offset:         68
        .size:           4
        .value_kind:     by_value
      - .offset:         72
        .size:           4
        .value_kind:     by_value
      - .offset:         76
        .size:           4
        .value_kind:     by_value
      - .offset:         80
        .size:           4
        .value_kind:     hidden_block_count_x
      - .offset:         84
        .size:           4
        .value_kind:     hidden_block_count_y
      - .offset:         88
        .size:           4
        .value_kind:     hidden_block_count_z
      - .offset:         92
        .size:           2
        .value_kind:     hidden_group_size_x
      - .offset:         94
        .size:           2
        .value_kind:     hidden_group_size_y
      - .offset:         96
        .size:           2
        .value_kind:     hidden_group_size_z
      - .offset:         98
        .size:           2
        .value_kind:     hidden_remainder_x
      - .offset:         100
        .size:           2
        .value_kind:     hidden_remainder_y
      - .offset:         102
        .size:           2
        .value_kind:     hidden_remainder_z
      - .offset:         120
        .size:           8
        .value_kind:     hidden_global_offset_x
      - .offset:         128
        .size:           8
        .value_kind:     hidden_global_offset_y
      - .offset:         136
        .size:           8
        .value_kind:     hidden_global_offset_z
      - .offset:         144
        .size:           2
        .value_kind:     hidden_grid_dims
    .group_segment_fixed_size: 0
    .kernarg_segment_align: 8
    .kernarg_segment_size: 336
    .language:       OpenCL C
    .language_version:
      - 2
      - 0
    .max_flat_workgroup_size: 1
    .name:           MIOpenBatchNormFwdInferSpatialEstInvVar
    .private_segment_fixed_size: 0
    .sgpr_count:     32
    .sgpr_spill_count: 0
    .symbol:         MIOpenBatchNormFwdInferSpatialEstInvVar.kd
    .uniform_work_group_size: 1
    .uses_dynamic_stack: false
    .vgpr_count:     4
    .vgpr_spill_count: 0
    .wavefront_size: 64
amdhsa.target:   amdgcn-amd-amdhsa--gfx906
amdhsa.version:
  - 1
  - 2
...

	.end_amdgpu_metadata
